;; amdgpu-corpus repo=ROCm/rocFFT kind=compiled arch=gfx1201 opt=O3
	.text
	.amdgcn_target "amdgcn-amd-amdhsa--gfx1201"
	.amdhsa_code_object_version 6
	.protected	fft_rtc_fwd_len1540_factors_11_2_7_5_2_wgs_154_tpt_154_halfLds_half_op_CI_CI_unitstride_sbrr_R2C_dirReg ; -- Begin function fft_rtc_fwd_len1540_factors_11_2_7_5_2_wgs_154_tpt_154_halfLds_half_op_CI_CI_unitstride_sbrr_R2C_dirReg
	.globl	fft_rtc_fwd_len1540_factors_11_2_7_5_2_wgs_154_tpt_154_halfLds_half_op_CI_CI_unitstride_sbrr_R2C_dirReg
	.p2align	8
	.type	fft_rtc_fwd_len1540_factors_11_2_7_5_2_wgs_154_tpt_154_halfLds_half_op_CI_CI_unitstride_sbrr_R2C_dirReg,@function
fft_rtc_fwd_len1540_factors_11_2_7_5_2_wgs_154_tpt_154_halfLds_half_op_CI_CI_unitstride_sbrr_R2C_dirReg: ; @fft_rtc_fwd_len1540_factors_11_2_7_5_2_wgs_154_tpt_154_halfLds_half_op_CI_CI_unitstride_sbrr_R2C_dirReg
; %bb.0:
	s_clause 0x2
	s_load_b128 s[8:11], s[0:1], 0x0
	s_load_b128 s[4:7], s[0:1], 0x58
	;; [unrolled: 1-line block ×3, first 2 shown]
	v_mul_u32_u24_e32 v1, 0x1aa, v0
	v_mov_b32_e32 v3, 0
	v_mov_b32_e32 v7, 0
	;; [unrolled: 1-line block ×3, first 2 shown]
	s_delay_alu instid0(VALU_DEP_4) | instskip(NEXT) | instid1(VALU_DEP_1)
	v_lshrrev_b32_e32 v1, 16, v1
	v_dual_mov_b32 v10, v3 :: v_dual_add_nc_u32 v9, ttmp9, v1
	s_wait_kmcnt 0x0
	v_cmp_lt_u64_e64 s2, s[10:11], 2
	s_delay_alu instid0(VALU_DEP_1)
	s_and_b32 vcc_lo, exec_lo, s2
	s_cbranch_vccnz .LBB0_8
; %bb.1:
	s_load_b64 s[2:3], s[0:1], 0x10
	v_mov_b32_e32 v7, 0
	v_mov_b32_e32 v8, 0
	s_delay_alu instid0(VALU_DEP_2)
	v_mov_b32_e32 v1, v7
	s_add_nc_u64 s[16:17], s[14:15], 8
	s_add_nc_u64 s[18:19], s[12:13], 8
	s_mov_b64 s[20:21], 1
	v_mov_b32_e32 v2, v8
	s_wait_kmcnt 0x0
	s_add_nc_u64 s[22:23], s[2:3], 8
	s_mov_b32 s3, 0
.LBB0_2:                                ; =>This Inner Loop Header: Depth=1
	s_load_b64 s[24:25], s[22:23], 0x0
                                        ; implicit-def: $vgpr5_vgpr6
	s_mov_b32 s2, exec_lo
	s_wait_kmcnt 0x0
	v_or_b32_e32 v4, s25, v10
	s_delay_alu instid0(VALU_DEP_1)
	v_cmpx_ne_u64_e32 0, v[3:4]
	s_wait_alu 0xfffe
	s_xor_b32 s26, exec_lo, s2
	s_cbranch_execz .LBB0_4
; %bb.3:                                ;   in Loop: Header=BB0_2 Depth=1
	s_cvt_f32_u32 s2, s24
	s_cvt_f32_u32 s27, s25
	s_sub_nc_u64 s[30:31], 0, s[24:25]
	s_wait_alu 0xfffe
	s_delay_alu instid0(SALU_CYCLE_1) | instskip(SKIP_1) | instid1(SALU_CYCLE_2)
	s_fmamk_f32 s2, s27, 0x4f800000, s2
	s_wait_alu 0xfffe
	v_s_rcp_f32 s2, s2
	s_delay_alu instid0(TRANS32_DEP_1) | instskip(SKIP_1) | instid1(SALU_CYCLE_2)
	s_mul_f32 s2, s2, 0x5f7ffffc
	s_wait_alu 0xfffe
	s_mul_f32 s27, s2, 0x2f800000
	s_wait_alu 0xfffe
	s_delay_alu instid0(SALU_CYCLE_2) | instskip(SKIP_1) | instid1(SALU_CYCLE_2)
	s_trunc_f32 s27, s27
	s_wait_alu 0xfffe
	s_fmamk_f32 s2, s27, 0xcf800000, s2
	s_cvt_u32_f32 s29, s27
	s_wait_alu 0xfffe
	s_delay_alu instid0(SALU_CYCLE_1) | instskip(SKIP_1) | instid1(SALU_CYCLE_2)
	s_cvt_u32_f32 s28, s2
	s_wait_alu 0xfffe
	s_mul_u64 s[34:35], s[30:31], s[28:29]
	s_wait_alu 0xfffe
	s_mul_hi_u32 s37, s28, s35
	s_mul_i32 s36, s28, s35
	s_mul_hi_u32 s2, s28, s34
	s_mul_i32 s33, s29, s34
	s_wait_alu 0xfffe
	s_add_nc_u64 s[36:37], s[2:3], s[36:37]
	s_mul_hi_u32 s27, s29, s34
	s_mul_hi_u32 s38, s29, s35
	s_add_co_u32 s2, s36, s33
	s_wait_alu 0xfffe
	s_add_co_ci_u32 s2, s37, s27
	s_mul_i32 s34, s29, s35
	s_add_co_ci_u32 s35, s38, 0
	s_wait_alu 0xfffe
	s_add_nc_u64 s[34:35], s[2:3], s[34:35]
	s_wait_alu 0xfffe
	v_add_co_u32 v4, s2, s28, s34
	s_delay_alu instid0(VALU_DEP_1) | instskip(SKIP_1) | instid1(VALU_DEP_1)
	s_cmp_lg_u32 s2, 0
	s_add_co_ci_u32 s29, s29, s35
	v_readfirstlane_b32 s28, v4
	s_wait_alu 0xfffe
	s_delay_alu instid0(VALU_DEP_1)
	s_mul_u64 s[30:31], s[30:31], s[28:29]
	s_wait_alu 0xfffe
	s_mul_hi_u32 s35, s28, s31
	s_mul_i32 s34, s28, s31
	s_mul_hi_u32 s2, s28, s30
	s_mul_i32 s33, s29, s30
	s_wait_alu 0xfffe
	s_add_nc_u64 s[34:35], s[2:3], s[34:35]
	s_mul_hi_u32 s27, s29, s30
	s_mul_hi_u32 s28, s29, s31
	s_wait_alu 0xfffe
	s_add_co_u32 s2, s34, s33
	s_add_co_ci_u32 s2, s35, s27
	s_mul_i32 s30, s29, s31
	s_add_co_ci_u32 s31, s28, 0
	s_wait_alu 0xfffe
	s_add_nc_u64 s[30:31], s[2:3], s[30:31]
	s_wait_alu 0xfffe
	v_add_co_u32 v6, s2, v4, s30
	s_delay_alu instid0(VALU_DEP_1) | instskip(SKIP_1) | instid1(VALU_DEP_1)
	s_cmp_lg_u32 s2, 0
	s_add_co_ci_u32 s2, s29, s31
	v_mul_hi_u32 v15, v9, v6
	s_wait_alu 0xfffe
	v_mad_co_u64_u32 v[4:5], null, v9, s2, 0
	v_mad_co_u64_u32 v[11:12], null, v10, v6, 0
	;; [unrolled: 1-line block ×3, first 2 shown]
	s_delay_alu instid0(VALU_DEP_3) | instskip(SKIP_1) | instid1(VALU_DEP_4)
	v_add_co_u32 v4, vcc_lo, v15, v4
	s_wait_alu 0xfffd
	v_add_co_ci_u32_e32 v5, vcc_lo, 0, v5, vcc_lo
	s_delay_alu instid0(VALU_DEP_2) | instskip(SKIP_1) | instid1(VALU_DEP_2)
	v_add_co_u32 v4, vcc_lo, v4, v11
	s_wait_alu 0xfffd
	v_add_co_ci_u32_e32 v4, vcc_lo, v5, v12, vcc_lo
	s_wait_alu 0xfffd
	v_add_co_ci_u32_e32 v5, vcc_lo, 0, v14, vcc_lo
	s_delay_alu instid0(VALU_DEP_2) | instskip(SKIP_1) | instid1(VALU_DEP_2)
	v_add_co_u32 v11, vcc_lo, v4, v13
	s_wait_alu 0xfffd
	v_add_co_ci_u32_e32 v6, vcc_lo, 0, v5, vcc_lo
	s_delay_alu instid0(VALU_DEP_2) | instskip(SKIP_1) | instid1(VALU_DEP_3)
	v_mul_lo_u32 v12, s25, v11
	v_mad_co_u64_u32 v[4:5], null, s24, v11, 0
	v_mul_lo_u32 v13, s24, v6
	s_delay_alu instid0(VALU_DEP_2) | instskip(NEXT) | instid1(VALU_DEP_2)
	v_sub_co_u32 v4, vcc_lo, v9, v4
	v_add3_u32 v5, v5, v13, v12
	s_delay_alu instid0(VALU_DEP_1) | instskip(SKIP_1) | instid1(VALU_DEP_1)
	v_sub_nc_u32_e32 v12, v10, v5
	s_wait_alu 0xfffd
	v_subrev_co_ci_u32_e64 v12, s2, s25, v12, vcc_lo
	v_add_co_u32 v13, s2, v11, 2
	s_wait_alu 0xf1ff
	v_add_co_ci_u32_e64 v14, s2, 0, v6, s2
	v_sub_co_u32 v15, s2, v4, s24
	v_sub_co_ci_u32_e32 v5, vcc_lo, v10, v5, vcc_lo
	s_wait_alu 0xf1ff
	v_subrev_co_ci_u32_e64 v12, s2, 0, v12, s2
	s_delay_alu instid0(VALU_DEP_3) | instskip(NEXT) | instid1(VALU_DEP_3)
	v_cmp_le_u32_e32 vcc_lo, s24, v15
	v_cmp_eq_u32_e64 s2, s25, v5
	s_wait_alu 0xfffd
	v_cndmask_b32_e64 v15, 0, -1, vcc_lo
	v_cmp_le_u32_e32 vcc_lo, s25, v12
	s_wait_alu 0xfffd
	v_cndmask_b32_e64 v16, 0, -1, vcc_lo
	v_cmp_le_u32_e32 vcc_lo, s24, v4
	;; [unrolled: 3-line block ×3, first 2 shown]
	s_wait_alu 0xfffd
	v_cndmask_b32_e64 v17, 0, -1, vcc_lo
	v_cmp_eq_u32_e32 vcc_lo, s25, v12
	s_wait_alu 0xf1ff
	s_delay_alu instid0(VALU_DEP_2)
	v_cndmask_b32_e64 v4, v17, v4, s2
	s_wait_alu 0xfffd
	v_cndmask_b32_e32 v12, v16, v15, vcc_lo
	v_add_co_u32 v15, vcc_lo, v11, 1
	s_wait_alu 0xfffd
	v_add_co_ci_u32_e32 v16, vcc_lo, 0, v6, vcc_lo
	s_delay_alu instid0(VALU_DEP_3) | instskip(SKIP_1) | instid1(VALU_DEP_2)
	v_cmp_ne_u32_e32 vcc_lo, 0, v12
	s_wait_alu 0xfffd
	v_dual_cndmask_b32 v5, v16, v14 :: v_dual_cndmask_b32 v12, v15, v13
	v_cmp_ne_u32_e32 vcc_lo, 0, v4
	s_wait_alu 0xfffd
	s_delay_alu instid0(VALU_DEP_2)
	v_dual_cndmask_b32 v6, v6, v5 :: v_dual_cndmask_b32 v5, v11, v12
.LBB0_4:                                ;   in Loop: Header=BB0_2 Depth=1
	s_wait_alu 0xfffe
	s_and_not1_saveexec_b32 s2, s26
	s_cbranch_execz .LBB0_6
; %bb.5:                                ;   in Loop: Header=BB0_2 Depth=1
	v_cvt_f32_u32_e32 v4, s24
	s_sub_co_i32 s26, 0, s24
	s_delay_alu instid0(VALU_DEP_1) | instskip(NEXT) | instid1(TRANS32_DEP_1)
	v_rcp_iflag_f32_e32 v4, v4
	v_mul_f32_e32 v4, 0x4f7ffffe, v4
	s_delay_alu instid0(VALU_DEP_1) | instskip(SKIP_1) | instid1(VALU_DEP_1)
	v_cvt_u32_f32_e32 v4, v4
	s_wait_alu 0xfffe
	v_mul_lo_u32 v5, s26, v4
	s_delay_alu instid0(VALU_DEP_1) | instskip(NEXT) | instid1(VALU_DEP_1)
	v_mul_hi_u32 v5, v4, v5
	v_add_nc_u32_e32 v4, v4, v5
	s_delay_alu instid0(VALU_DEP_1) | instskip(NEXT) | instid1(VALU_DEP_1)
	v_mul_hi_u32 v4, v9, v4
	v_mul_lo_u32 v5, v4, s24
	v_add_nc_u32_e32 v6, 1, v4
	s_delay_alu instid0(VALU_DEP_2) | instskip(NEXT) | instid1(VALU_DEP_1)
	v_sub_nc_u32_e32 v5, v9, v5
	v_subrev_nc_u32_e32 v11, s24, v5
	v_cmp_le_u32_e32 vcc_lo, s24, v5
	s_wait_alu 0xfffd
	s_delay_alu instid0(VALU_DEP_2) | instskip(NEXT) | instid1(VALU_DEP_1)
	v_dual_cndmask_b32 v5, v5, v11 :: v_dual_cndmask_b32 v4, v4, v6
	v_cmp_le_u32_e32 vcc_lo, s24, v5
	s_delay_alu instid0(VALU_DEP_2) | instskip(SKIP_1) | instid1(VALU_DEP_1)
	v_add_nc_u32_e32 v6, 1, v4
	s_wait_alu 0xfffd
	v_dual_cndmask_b32 v5, v4, v6 :: v_dual_mov_b32 v6, v3
.LBB0_6:                                ;   in Loop: Header=BB0_2 Depth=1
	s_wait_alu 0xfffe
	s_or_b32 exec_lo, exec_lo, s2
	s_delay_alu instid0(VALU_DEP_1) | instskip(NEXT) | instid1(VALU_DEP_2)
	v_mul_lo_u32 v4, v6, s24
	v_mul_lo_u32 v13, v5, s25
	s_load_b64 s[26:27], s[18:19], 0x0
	v_mad_co_u64_u32 v[11:12], null, v5, s24, 0
	s_load_b64 s[24:25], s[16:17], 0x0
	s_add_nc_u64 s[20:21], s[20:21], 1
	s_add_nc_u64 s[16:17], s[16:17], 8
	s_wait_alu 0xfffe
	v_cmp_ge_u64_e64 s2, s[20:21], s[10:11]
	s_add_nc_u64 s[18:19], s[18:19], 8
	s_add_nc_u64 s[22:23], s[22:23], 8
	v_add3_u32 v4, v12, v13, v4
	v_sub_co_u32 v9, vcc_lo, v9, v11
	s_wait_alu 0xfffd
	s_delay_alu instid0(VALU_DEP_2) | instskip(SKIP_2) | instid1(VALU_DEP_1)
	v_sub_co_ci_u32_e32 v4, vcc_lo, v10, v4, vcc_lo
	s_and_b32 vcc_lo, exec_lo, s2
	s_wait_kmcnt 0x0
	v_mul_lo_u32 v10, s26, v4
	v_mul_lo_u32 v11, s27, v9
	v_mad_co_u64_u32 v[7:8], null, s26, v9, v[7:8]
	v_mul_lo_u32 v4, s24, v4
	v_mul_lo_u32 v12, s25, v9
	v_mad_co_u64_u32 v[1:2], null, s24, v9, v[1:2]
	s_delay_alu instid0(VALU_DEP_4) | instskip(NEXT) | instid1(VALU_DEP_2)
	v_add3_u32 v8, v11, v8, v10
	v_add3_u32 v2, v12, v2, v4
	s_wait_alu 0xfffe
	s_cbranch_vccnz .LBB0_9
; %bb.7:                                ;   in Loop: Header=BB0_2 Depth=1
	v_dual_mov_b32 v10, v6 :: v_dual_mov_b32 v9, v5
	s_branch .LBB0_2
.LBB0_8:
	v_dual_mov_b32 v1, v7 :: v_dual_mov_b32 v2, v8
	v_dual_mov_b32 v5, v9 :: v_dual_mov_b32 v6, v10
.LBB0_9:
	s_load_b64 s[0:1], s[0:1], 0x28
	v_mul_hi_u32 v4, 0x1a98ef7, v0
                                        ; implicit-def: $vgpr3
	s_wait_kmcnt 0x0
	s_delay_alu instid0(VALU_DEP_2) | instskip(SKIP_1) | instid1(VALU_DEP_1)
	v_cmp_gt_u64_e32 vcc_lo, s[0:1], v[5:6]
	v_cmp_le_u64_e64 s0, s[0:1], v[5:6]
	s_and_saveexec_b32 s1, s0
	s_wait_alu 0xfffe
	s_xor_b32 s0, exec_lo, s1
; %bb.10:
	s_delay_alu instid0(VALU_DEP_3) | instskip(NEXT) | instid1(VALU_DEP_1)
	v_mul_u32_u24_e32 v3, 0x9a, v4
                                        ; implicit-def: $vgpr4
                                        ; implicit-def: $vgpr7_vgpr8
	v_sub_nc_u32_e32 v3, v0, v3
                                        ; implicit-def: $vgpr0
; %bb.11:
	s_wait_alu 0xfffe
	s_or_saveexec_b32 s1, s0
	s_lshl_b64 s[2:3], s[10:11], 3
	s_wait_alu 0xfffe
	s_xor_b32 exec_lo, exec_lo, s1
	s_cbranch_execz .LBB0_13
; %bb.12:
	s_add_nc_u64 s[10:11], s[12:13], s[2:3]
	v_lshlrev_b64_e32 v[7:8], 2, v[7:8]
	s_load_b64 s[10:11], s[10:11], 0x0
	s_wait_kmcnt 0x0
	v_mul_lo_u32 v3, s11, v5
	v_mul_lo_u32 v11, s10, v6
	v_mad_co_u64_u32 v[9:10], null, s10, v5, 0
	s_delay_alu instid0(VALU_DEP_1) | instskip(SKIP_1) | instid1(VALU_DEP_2)
	v_add3_u32 v10, v10, v11, v3
	v_mul_u32_u24_e32 v3, 0x9a, v4
	v_lshlrev_b64_e32 v[9:10], 2, v[9:10]
	s_delay_alu instid0(VALU_DEP_2) | instskip(NEXT) | instid1(VALU_DEP_2)
	v_sub_nc_u32_e32 v3, v0, v3
	v_add_co_u32 v0, s0, s4, v9
	s_wait_alu 0xf1ff
	s_delay_alu instid0(VALU_DEP_3) | instskip(NEXT) | instid1(VALU_DEP_3)
	v_add_co_ci_u32_e64 v4, s0, s5, v10, s0
	v_lshlrev_b32_e32 v9, 2, v3
	s_delay_alu instid0(VALU_DEP_3) | instskip(SKIP_1) | instid1(VALU_DEP_3)
	v_add_co_u32 v0, s0, v0, v7
	s_wait_alu 0xf1ff
	v_add_co_ci_u32_e64 v4, s0, v4, v8, s0
	s_delay_alu instid0(VALU_DEP_2) | instskip(SKIP_1) | instid1(VALU_DEP_2)
	v_add_co_u32 v7, s0, v0, v9
	s_wait_alu 0xf1ff
	v_add_co_ci_u32_e64 v8, s0, 0, v4, s0
	s_clause 0x9
	global_load_b32 v0, v[7:8], off
	global_load_b32 v4, v[7:8], off offset:616
	global_load_b32 v10, v[7:8], off offset:1232
	;; [unrolled: 1-line block ×9, first 2 shown]
	v_add_nc_u32_e32 v8, 0, v9
	s_delay_alu instid0(VALU_DEP_1)
	v_add_nc_u32_e32 v9, 0x400, v8
	v_add_nc_u32_e32 v17, 0x900, v8
	;; [unrolled: 1-line block ×4, first 2 shown]
	s_wait_loadcnt 0x8
	ds_store_2addr_b32 v8, v0, v4 offset1:154
	s_wait_loadcnt 0x6
	ds_store_2addr_b32 v9, v10, v11 offset0:52 offset1:206
	s_wait_loadcnt 0x4
	ds_store_2addr_b32 v17, v12, v13 offset0:40 offset1:194
	;; [unrolled: 2-line block ×4, first 2 shown]
.LBB0_13:
	s_or_b32 exec_lo, exec_lo, s1
	v_lshl_add_u32 v0, v3, 2, 0
	global_wb scope:SCOPE_SE
	s_wait_dscnt 0x0
	s_barrier_signal -1
	s_barrier_wait -1
	global_inv scope:SCOPE_SE
	ds_load_2addr_b32 v[9:10], v0 offset1:140
	ds_load_b32 v24, v0 offset:5600
	v_add_nc_u32_e32 v7, 0x400, v0
	v_add_nc_u32_e32 v4, 0x1000, v0
	;; [unrolled: 1-line block ×4, first 2 shown]
	ds_load_2addr_b32 v[17:18], v7 offset0:24 offset1:164
	ds_load_2addr_b32 v[11:12], v4 offset0:96 offset1:236
	;; [unrolled: 1-line block ×4, first 2 shown]
	s_add_nc_u64 s[2:3], s[14:15], s[2:3]
	s_mov_b32 s1, exec_lo
	global_wb scope:SCOPE_SE
	s_wait_dscnt 0x0
	s_barrier_signal -1
	s_barrier_wait -1
	global_inv scope:SCOPE_SE
	v_lshrrev_b32_e32 v30, 16, v9
	v_pk_add_f16 v20, v10, v24 neg_lo:[0,1] neg_hi:[0,1]
	v_pk_add_f16 v27, v24, v10
	v_pk_add_f16 v22, v17, v12 neg_lo:[0,1] neg_hi:[0,1]
	s_delay_alu instid0(VALU_DEP_3) | instskip(NEXT) | instid1(VALU_DEP_3)
	v_lshrrev_b32_e32 v41, 16, v20
	v_lshrrev_b32_e32 v42, 16, v27
	v_mul_f16_e32 v31, 0xb853, v20
	v_pk_add_f16 v28, v12, v17
	v_pk_add_f16 v21, v18, v11 neg_lo:[0,1] neg_hi:[0,1]
	v_mul_f16_e32 v35, 0xb853, v41
	v_lshrrev_b32_e32 v48, 16, v22
	v_pk_add_f16 v29, v11, v18
	v_pk_add_f16 v23, v15, v14 neg_lo:[0,1] neg_hi:[0,1]
	v_fma_f16 v4, v42, 0x3abb, -v31
	v_lshrrev_b32_e32 v50, 16, v28
	v_mul_f16_e32 v37, 0xbb47, v22
	v_lshrrev_b32_e32 v45, 16, v21
	v_fmamk_f16 v8, v27, 0x3abb, v35
	v_mul_f16_e32 v39, 0xbb47, v48
	v_pk_add_f16 v25, v14, v15
	v_pk_add_f16 v19, v16, v13 neg_lo:[0,1] neg_hi:[0,1]
	v_lshrrev_b32_e32 v49, 16, v29
	v_mul_f16_e32 v34, 0xbbeb, v21
	v_lshrrev_b32_e32 v44, 16, v23
	v_mul_f16_e32 v38, 0xbbeb, v45
	v_add_f16_e32 v8, v9, v8
	v_fmamk_f16 v33, v28, 0x36a6, v39
	v_add_f16_e32 v4, v30, v4
	v_fma_f16 v40, v50, 0x36a6, -v37
	v_pk_add_f16 v26, v13, v16
	v_lshrrev_b32_e32 v46, 16, v25
	v_mul_f16_e32 v32, 0xba0c, v23
	v_lshrrev_b32_e32 v43, 16, v19
	v_mul_f16_e32 v36, 0xba0c, v44
	v_fmamk_f16 v47, v29, 0xb08e, v38
	v_add_f16_e32 v8, v33, v8
	v_fma_f16 v51, v49, 0xb08e, -v34
	v_add_f16_e32 v4, v40, v4
	v_fma_f16 v52, v46, 0xb93d, -v32
	v_fmamk_f16 v53, v25, 0xb93d, v36
	v_add_f16_e32 v8, v47, v8
	v_mul_f16_e32 v33, 0xb482, v43
	v_lshrrev_b32_e32 v47, 16, v26
	v_mul_f16_e32 v40, 0xb482, v19
	v_add_f16_e32 v4, v51, v4
	v_add_f16_e32 v8, v53, v8
	v_fmamk_f16 v51, v26, 0xbbad, v33
	s_delay_alu instid0(VALU_DEP_4) | instskip(NEXT) | instid1(VALU_DEP_4)
	v_fma_f16 v53, v47, 0xbbad, -v40
	v_add_f16_e32 v4, v52, v4
	s_delay_alu instid0(VALU_DEP_3) | instskip(NEXT) | instid1(VALU_DEP_2)
	v_add_f16_e32 v8, v51, v8
	v_add_f16_e32 v4, v53, v4
	v_cmpx_gt_u32_e32 0x8c, v3
	s_cbranch_execz .LBB0_15
; %bb.14:
	v_mul_f16_e32 v67, 0xbb47, v41
	v_mul_f16_e32 v73, 0xba0c, v48
	v_mul_f16_e32 v77, 0x3482, v45
	v_mul_f16_e32 v79, 0xb08e, v42
	v_pk_mul_f16 v57, 0x36a6b08e, v27
	v_fmamk_f16 v72, v27, 0x36a6, v67
	v_fmamk_f16 v76, v28, 0xb93d, v73
	v_mul_f16_e32 v80, 0x3beb, v44
	v_fmamk_f16 v81, v20, 0x3beb, v79
	v_mul_f16_e32 v82, 0xbbad, v50
	v_add_f16_e32 v72, v9, v72
	v_pk_fma_f16 v62, 0xbbebbb47, v20, v57 op_sel:[0,0,1] op_sel_hi:[1,1,0] neg_lo:[0,1,0] neg_hi:[0,1,0]
	v_pk_mul_f16 v63, 0xb93dbbad, v28
	v_add_f16_e32 v81, v30, v81
	v_fmamk_f16 v83, v22, 0xb482, v82
	v_add_f16_e32 v72, v76, v72
	v_fmamk_f16 v76, v29, 0xbbad, v77
	v_mul_f16_e32 v84, 0x36a6, v49
	v_pk_fma_f16 v57, 0xbbebbb47, v20, v57 op_sel:[0,0,1] op_sel_hi:[1,1,0]
	v_pk_mul_f16 v64, 0xbbad36a6, v29
	v_pk_fma_f16 v68, 0x3482ba0c, v22, v63 op_sel:[0,0,1] op_sel_hi:[1,1,0] neg_lo:[0,1,0] neg_hi:[0,1,0]
	v_add_f16_e32 v72, v76, v72
	v_fmamk_f16 v76, v25, 0xb08e, v80
	v_alignbit_b32 v86, s0, v57, 16
	v_pk_fma_f16 v63, 0x3482ba0c, v22, v63 op_sel:[0,0,1] op_sel_hi:[1,1,0]
	v_pk_fma_f16 v69, 0x3b473482, v21, v64 op_sel:[0,0,1] op_sel_hi:[1,1,0] neg_lo:[0,1,0] neg_hi:[0,1,0]
	v_mul_f16_e32 v87, 0xb93d, v47
	v_add_f16_e32 v72, v76, v72
	v_add_f16_e32 v76, v83, v81
	v_fmamk_f16 v81, v21, 0xbb47, v84
	v_mul_f16_e32 v83, 0x3abb, v46
	v_pk_add_f16 v86, v9, v86
	v_alignbit_b32 v88, s0, v63, 16
	v_pk_fma_f16 v64, 0x3b473482, v21, v64 op_sel:[0,0,1] op_sel_hi:[1,1,0]
	v_add_f16_e32 v76, v81, v76
	v_fmamk_f16 v81, v23, 0x3853, v83
	v_mul_f16_e32 v41, 0xba0c, v41
	v_pk_add_f16 v86, v88, v86
	v_alignbit_b32 v88, s0, v64, 16
	v_mul_f16_e32 v48, 0x3beb, v48
	v_add_f16_e32 v76, v81, v76
	v_fmamk_f16 v81, v19, 0x3a0c, v87
	v_mul_f16_e32 v45, 0xb853, v45
	v_pk_add_f16 v10, v9, v10
	v_fmamk_f16 v90, v28, 0xb08e, v48
	v_fma_f16 v48, v28, 0xb08e, -v48
	v_add_f16_e32 v76, v81, v76
	v_pk_add_f16 v81, v88, v86
	v_fmamk_f16 v88, v27, 0xb93d, v41
	v_fma_f16 v41, v27, 0xb93d, -v41
	v_mul_f16_e32 v44, 0xb482, v44
	v_pk_add_f16 v10, v10, v17
	v_mul_f16_e32 v52, 0x3abb, v42
	v_add_f16_e32 v88, v9, v88
	v_add_f16_e32 v41, v9, v41
	v_mul_f16_e32 v85, 0x3853, v43
	v_mul_f16_e32 v42, 0xb93d, v42
	v_pk_add_f16 v10, v10, v18
	v_add_f16_e32 v88, v90, v88
	v_fmamk_f16 v90, v29, 0x3abb, v45
	v_add_f16_e32 v41, v48, v41
	v_fma_f16 v45, v29, 0x3abb, -v45
	v_mul_f16_e32 v54, 0x36a6, v50
	v_fmamk_f16 v89, v26, 0x3abb, v85
	v_add_f16_e32 v88, v90, v88
	v_fmamk_f16 v90, v25, 0xbbad, v44
	v_add_f16_e32 v41, v45, v41
	v_fma_f16 v44, v25, 0xbbad, -v44
	v_fma_f16 v45, v27, 0x36a6, -v67
	v_fmamk_f16 v86, v20, 0x3a0c, v42
	v_mul_f16_e32 v50, 0xb08e, v50
	v_fmac_f16_e32 v42, 0xba0c, v20
	v_add_f16_e32 v41, v44, v41
	v_add_f16_e32 v44, v9, v45
	v_fma_f16 v45, v28, 0xb93d, -v73
	v_add_f16_e32 v17, v31, v52
	v_pk_add_f16 v10, v10, v15
	v_mul_f16_e32 v51, 0x3abb, v27
	v_mul_f16_e32 v56, 0xb08e, v49
	v_add_f16_e32 v72, v89, v72
	v_add_f16_e32 v86, v30, v86
	v_fmamk_f16 v89, v22, 0xbbeb, v50
	v_mul_f16_e32 v49, 0x3abb, v49
	v_add_f16_e32 v42, v30, v42
	v_fmac_f16_e32 v50, 0x3beb, v22
	v_add_f16_e32 v44, v45, v44
	v_fma_f16 v45, v29, 0xbbad, -v77
	v_add_f16_e32 v17, v30, v17
	v_add_f16_e32 v18, v37, v54
	v_pk_add_f16 v10, v10, v16
	v_mul_f16_e32 v53, 0x36a6, v28
	v_add_f16_e32 v86, v89, v86
	v_fmamk_f16 v89, v21, 0x3853, v49
	v_add_f16_e32 v42, v50, v42
	v_fmac_f16_e32 v49, 0xb853, v21
	v_fmac_f16_e32 v79, 0xbbeb, v20
	v_add_f16_e32 v31, v45, v44
	v_fma_f16 v44, v25, 0xb08e, -v80
	v_sub_f16_e32 v35, v51, v35
	v_mul_f16_e32 v59, 0xb93d, v46
	v_add_f16_e32 v17, v18, v17
	v_add_f16_e32 v18, v34, v56
	v_pk_add_f16 v10, v10, v13
	v_mul_f16_e32 v55, 0xb08e, v29
	v_add_f16_e32 v71, v30, v62
	v_add_f16_e32 v42, v49, v42
	;; [unrolled: 1-line block ×5, first 2 shown]
	v_sub_f16_e32 v15, v53, v39
	v_mul_f16_e32 v61, 0xbbad, v47
	v_add_f16_e32 v17, v18, v17
	v_add_f16_e32 v18, v32, v59
	v_pk_add_f16 v10, v10, v14
	v_mul_f16_e32 v58, 0xb93d, v25
	v_add_f16_e32 v15, v15, v31
	v_sub_f16_e32 v16, v55, v38
	v_add_f16_e32 v17, v18, v17
	v_add_f16_e32 v14, v40, v61
	v_bfi_b32 v18, 0xffff, v57, v62
	v_pk_add_f16 v10, v10, v11
	v_mul_f16_e32 v60, 0xbbad, v26
	v_add_f16_e32 v15, v16, v15
	v_sub_f16_e32 v16, v58, v36
	v_add_f16_e32 v11, v14, v17
	v_pk_add_f16 v14, v9, v18 op_sel:[1,0] op_sel_hi:[0,1]
	v_bfi_b32 v17, 0xffff, v63, v68
	v_pk_add_f16 v10, v10, v12
	v_pk_mul_f16 v12, 0xbbad, v27 op_sel_hi:[0,1]
	v_pk_mul_f16 v65, 0xb08e3abb, v25
	v_add_f16_e32 v15, v16, v15
	v_sub_f16_e32 v16, v60, v33
	v_alignbit_b32 v66, s0, v9, 16
	v_pk_add_f16 v14, v17, v14
	v_bfi_b32 v17, 0xffff, v64, v69
	v_pk_add_f16 v10, v10, v24
	v_pk_fma_f16 v18, 0xb482, v20, v12 op_sel:[0,0,1] op_sel_hi:[0,1,0] neg_lo:[0,1,0] neg_hi:[0,1,0]
	v_pk_mul_f16 v24, 0x3abb, v28 op_sel_hi:[0,1]
	v_pk_fma_f16 v70, 0xb8533beb, v23, v65 op_sel:[0,0,1] op_sel_hi:[1,1,0] neg_lo:[0,1,0] neg_hi:[0,1,0]
	v_pk_fma_f16 v65, 0xb8533beb, v23, v65 op_sel:[0,0,1] op_sel_hi:[1,1,0]
	v_add_f16_e32 v15, v16, v15
	v_pk_add_f16 v14, v17, v14
	v_pk_add_f16 v17, v66, v18
	v_pk_fma_f16 v27, 0x3853, v22, v24 op_sel:[0,0,1] op_sel_hi:[0,1,0] neg_lo:[0,1,0] neg_hi:[0,1,0]
	v_pk_mul_f16 v28, 0xb93d, v29 op_sel_hi:[0,1]
	v_pk_fma_f16 v12, 0xb482, v20, v12 op_sel:[0,0,1] op_sel_hi:[0,1,0]
	v_alignbit_b32 v18, s0, v18, 16
	v_mul_f16_e32 v46, 0xbbad, v46
	v_pk_mul_f16 v74, 0x3abbb93d, v26
	v_pack_b32_f16 v11, v15, v11
	v_bfi_b32 v15, 0xffff, v65, v70
	v_fmac_f16_e32 v82, 0x3482, v22
	v_pk_fma_f16 v20, 0xba0c, v21, v28 op_sel:[0,0,1] op_sel_hi:[0,1,0] neg_lo:[0,1,0] neg_hi:[0,1,0]
	v_pk_add_f16 v12, v9, v12 op_sel:[1,0] op_sel_hi:[0,1]
	v_pk_fma_f16 v22, 0x3853, v22, v24 op_sel:[0,0,1] op_sel_hi:[0,1,0]
	v_pk_add_f16 v9, v9, v18
	v_alignbit_b32 v18, s0, v27, 16
	v_add_f16_e32 v86, v89, v86
	v_fmamk_f16 v89, v23, 0x3482, v46
	v_mul_f16_e32 v47, 0x36a6, v47
	v_fmac_f16_e32 v46, 0xb482, v23
	v_pk_fma_f16 v78, 0xba0c3853, v19, v74 op_sel:[0,0,1] op_sel_hi:[1,1,0] neg_lo:[0,1,0] neg_hi:[0,1,0]
	v_pk_add_f16 v14, v15, v14
	v_pk_fma_f16 v15, 0xba0c3853, v19, v74 op_sel:[0,0,1] op_sel_hi:[1,1,0]
	v_pk_add_f16 v17, v27, v17
	v_pk_mul_f16 v24, 0x36a6, v25 op_sel_hi:[0,1]
	v_fmac_f16_e32 v84, 0x3b47, v21
	v_pk_add_f16 v12, v22, v12
	v_pk_fma_f16 v21, 0xba0c, v21, v28 op_sel:[0,0,1] op_sel_hi:[0,1,0]
	v_pk_add_f16 v9, v18, v9
	v_alignbit_b32 v18, s0, v20, 16
	v_add_f16_e32 v42, v46, v42
	v_fmamk_f16 v46, v19, 0x3b47, v47
	v_add_f16_e32 v48, v82, v49
	v_bfi_b32 v15, 0xffff, v15, v78
	v_pk_add_f16 v17, v20, v17
	v_pk_fma_f16 v22, 0x3b47, v23, v24 op_sel:[0,0,1] op_sel_hi:[0,1,0] neg_lo:[0,1,0] neg_hi:[0,1,0]
	v_pk_mul_f16 v25, 0xb08e, v26 op_sel_hi:[0,1]
	v_pk_mul_f16 v75, 0xba0c3853, v19
	v_mul_f16_e32 v91, 0x3b47, v19
	v_pk_add_f16 v12, v21, v12
	v_pk_fma_f16 v21, 0x3b47, v23, v24 op_sel:[0,0,1] op_sel_hi:[0,1,0]
	v_pk_add_f16 v9, v18, v9
	v_lshlrev_b32_e32 v18, 16, v81
	v_add_f16_e32 v71, v68, v71
	v_mul_f16_e32 v43, 0x3b47, v43
	v_add_f16_e32 v42, v46, v42
	v_add_f16_e32 v46, v84, v48
	v_fmac_f16_e32 v83, 0xb853, v23
	v_pk_add_f16 v14, v15, v14
	v_pk_add_f16 v15, v22, v17
	v_pk_fma_f16 v17, 0xbbeb, v19, v25 op_sel:[0,0,1] op_sel_hi:[0,1,0] neg_lo:[0,1,0] neg_hi:[0,1,0]
	v_alignbit_b32 v20, s0, v22, 16
	v_pk_add_f16 v12, v21, v12
	v_pack_b32_f16 v21, v89, v74
	v_bfi_b32 v22, 0xffff, v86, v75
	v_pk_add_f16 v23, v47, v91 neg_lo:[0,1] neg_hi:[0,1]
	v_pk_add_f16 v18, v65, v18
	v_add_f16_e32 v71, v69, v71
	v_add_f16_e32 v88, v90, v88
	v_fmamk_f16 v90, v26, 0x36a6, v43
	v_fma_f16 v43, v26, 0x36a6, -v43
	v_add_f16_e32 v46, v83, v46
	v_fmac_f16_e32 v87, 0xba0c, v19
	v_fma_f16 v34, v26, 0x3abb, -v85
	v_pk_fma_f16 v19, 0xbbeb, v19, v25 op_sel:[0,0,1] op_sel_hi:[0,1,0]
	v_pk_add_f16 v9, v20, v9
	v_alignbit_b32 v20, s0, v17, 16
	v_pk_add_f16 v21, v21, v22
	v_bfi_b32 v18, 0xffff, v23, v18
	v_add_f16_e32 v71, v70, v71
	v_add_f16_e32 v41, v43, v41
	v_add_f16_e32 v43, v87, v46
	v_add_f16_e32 v13, v34, v30
	v_pk_add_f16 v15, v17, v15
	v_pk_add_f16 v12, v19, v12
	;; [unrolled: 1-line block ×3, first 2 shown]
	v_add_f16_e32 v50, v90, v88
	v_pk_add_f16 v17, v18, v21
	v_add_f16_e32 v71, v78, v71
	v_mad_u32_u24 v16, v3, 40, v0
	v_alignbit_b32 v22, v43, v14, 16
	v_pack_b32_f16 v13, v13, v14
	v_pack_b32_f16 v14, v41, v42
	v_alignbit_b32 v15, v15, v12, 16
	v_pack_b32_f16 v9, v9, v12
	v_alignbit_b32 v12, v76, v17, 16
	v_pack_b32_f16 v17, v50, v17
	v_pack_b32_f16 v18, v72, v71
	v_perm_b32 v19, v4, v8, 0x5040100
	ds_store_2addr_b32 v16, v10, v11 offset1:1
	ds_store_2addr_b32 v16, v13, v22 offset0:2 offset1:3
	ds_store_b32 v16, v14 offset:16
	ds_store_2addr_b32 v16, v9, v15 offset0:5 offset1:6
	ds_store_2addr_b32 v16, v17, v12 offset0:7 offset1:8
	;; [unrolled: 1-line block ×3, first 2 shown]
.LBB0_15:
	s_wait_alu 0xfffe
	s_or_b32 exec_lo, exec_lo, s1
	v_and_b32_e32 v9, 0xff, v3
	v_add_nc_u32_e32 v11, 0x268, v3
	v_add_nc_u32_e32 v12, 0x1ce, v3
	;; [unrolled: 1-line block ×4, first 2 shown]
	v_mul_lo_u16 v9, 0x75, v9
	v_and_b32_e32 v14, 0xffff, v11
	v_and_b32_e32 v15, 0xffff, v12
	;; [unrolled: 1-line block ×4, first 2 shown]
	v_lshrrev_b16 v9, 8, v9
	v_mul_u32_u24_e32 v14, 0xba2f, v14
	v_mul_u32_u24_e32 v15, 0xba2f, v15
	;; [unrolled: 1-line block ×4, first 2 shown]
	v_sub_nc_u16 v10, v3, v9
	v_lshrrev_b32_e32 v20, 19, v14
	v_lshrrev_b32_e32 v24, 19, v15
	;; [unrolled: 1-line block ×4, first 2 shown]
	v_lshrrev_b16 v10, 1, v10
	s_load_b64 s[2:3], s[2:3], 0x0
	v_mul_lo_u16 v14, v24, 11
	v_mul_lo_u16 v15, v25, 11
	;; [unrolled: 1-line block ×3, first 2 shown]
	v_and_b32_e32 v10, 0x7f, v10
	global_wb scope:SCOPE_SE
	s_wait_dscnt 0x0
	s_wait_kmcnt 0x0
	s_barrier_signal -1
	s_barrier_wait -1
	global_inv scope:SCOPE_SE
	v_add_nc_u16 v9, v10, v9
	v_mul_lo_u16 v10, v20, 11
	v_mul_u32_u24_e32 v25, 0x58, v25
	v_mul_u32_u24_e32 v24, 0x58, v24
	;; [unrolled: 1-line block ×3, first 2 shown]
	v_lshrrev_b16 v9, 3, v9
	v_sub_nc_u16 v10, v11, v10
	v_sub_nc_u16 v11, v12, v14
	;; [unrolled: 1-line block ×4, first 2 shown]
	v_mul_lo_u16 v17, v9, 11
	v_and_b32_e32 v10, 0xffff, v10
	v_and_b32_e32 v11, 0xffff, v11
	;; [unrolled: 1-line block ×4, first 2 shown]
	v_sub_nc_u16 v14, v3, v17
	v_lshlrev_b32_e32 v27, 2, v10
	v_lshlrev_b32_e32 v28, 2, v11
	;; [unrolled: 1-line block ×4, first 2 shown]
	v_and_b32_e32 v14, 0xff, v14
	v_add_nc_u32_e32 v12, 0x900, v0
	v_add_nc_u32_e32 v15, 0x1200, v0
	;; [unrolled: 1-line block ×3, first 2 shown]
	v_add3_u32 v25, 0, v25, v29
	v_lshlrev_b32_e32 v31, 2, v14
	s_clause 0x4
	global_load_b32 v32, v27, s[8:9]
	global_load_b32 v33, v28, s[8:9]
	;; [unrolled: 1-line block ×5, first 2 shown]
	ds_load_2addr_b32 v[10:11], v0 offset1:154
	ds_load_2addr_b32 v[13:14], v7 offset0:52 offset1:206
	ds_load_2addr_b32 v[15:16], v15 offset0:80 offset1:234
	;; [unrolled: 1-line block ×4, first 2 shown]
	v_and_b32_e32 v7, 0xffff, v9
	v_mul_u32_u24_e32 v9, 0x58, v26
	v_add3_u32 v24, 0, v24, v28
	v_add3_u32 v20, 0, v20, v27
	v_add_nc_u32_e32 v37, 0x680, v0
	v_mul_u32_u24_e32 v7, 0x58, v7
	v_add3_u32 v26, 0, v9, v30
	v_add_nc_u32_e32 v38, 0xd80, v0
	global_wb scope:SCOPE_SE
	s_wait_loadcnt_dscnt 0x0
	s_barrier_signal -1
	v_add3_u32 v27, 0, v7, v31
	s_barrier_wait -1
	global_inv scope:SCOPE_SE
	v_cmp_gt_u32_e64 s0, 0x42, v3
	v_pk_mul_f16 v7, v32, v16 op_sel:[0,1]
	v_pk_mul_f16 v9, v33, v15 op_sel:[0,1]
	;; [unrolled: 1-line block ×5, first 2 shown]
	v_pk_fma_f16 v31, v32, v16, v7 op_sel:[0,0,1] op_sel_hi:[1,1,0] neg_lo:[0,0,1] neg_hi:[0,0,1]
	v_pk_fma_f16 v39, v33, v15, v9 op_sel:[0,0,1] op_sel_hi:[1,1,0] neg_lo:[0,0,1] neg_hi:[0,0,1]
	;; [unrolled: 1-line block ×5, first 2 shown]
	v_pk_fma_f16 v23, v36, v23, v30 op_sel:[0,0,1] op_sel_hi:[1,0,0]
	v_pk_fma_f16 v17, v35, v17, v29 op_sel:[0,0,1] op_sel_hi:[1,0,0]
	;; [unrolled: 1-line block ×5, first 2 shown]
	v_bfi_b32 v15, 0xffff, v42, v23
	v_bfi_b32 v16, 0xffff, v41, v17
	;; [unrolled: 1-line block ×5, first 2 shown]
	v_pk_add_f16 v15, v10, v15 neg_lo:[0,1] neg_hi:[0,1]
	v_pk_add_f16 v16, v11, v16 neg_lo:[0,1] neg_hi:[0,1]
	;; [unrolled: 1-line block ×5, first 2 shown]
	v_pk_fma_f16 v18, v10, 2.0, v15 op_sel_hi:[1,0,1] neg_lo:[0,0,1] neg_hi:[0,0,1]
	v_pk_fma_f16 v11, v11, 2.0, v16 op_sel_hi:[1,0,1] neg_lo:[0,0,1] neg_hi:[0,0,1]
	;; [unrolled: 1-line block ×5, first 2 shown]
	ds_store_2addr_b32 v27, v18, v15 offset1:11
	ds_store_2addr_b32 v26, v11, v16 offset1:11
	;; [unrolled: 1-line block ×5, first 2 shown]
	global_wb scope:SCOPE_SE
	s_wait_dscnt 0x0
	s_barrier_signal -1
	s_barrier_wait -1
	global_inv scope:SCOPE_SE
	ds_load_2addr_b32 v[13:14], v0 offset1:220
	ds_load_2addr_b32 v[17:18], v37 offset0:24 offset1:244
	ds_load_2addr_b32 v[15:16], v38 offset0:16 offset1:236
	ds_load_b32 v28, v0 offset:5280
	v_lshrrev_b32_e32 v23, 16, v10
	v_lshrrev_b32_e32 v22, 16, v7
	;; [unrolled: 1-line block ×3, first 2 shown]
                                        ; implicit-def: $vgpr24
                                        ; implicit-def: $vgpr11
                                        ; implicit-def: $vgpr25
                                        ; implicit-def: $vgpr26
                                        ; implicit-def: $vgpr27
	s_and_saveexec_b32 s1, s0
	s_cbranch_execz .LBB0_17
; %bb.16:
	v_add_nc_u32_e32 v4, 0x200, v0
	v_add_nc_u32_e32 v11, 0x1000, v0
	ds_load_2addr_b32 v[7:8], v12 offset0:18 offset1:238
	ds_load_b32 v26, v0 offset:5896
	ds_load_2addr_b32 v[9:10], v4 offset0:26 offset1:246
	ds_load_2addr_b32 v[11:12], v11 offset0:10 offset1:230
	ds_load_u16 v22, v0 offset:2378
	s_wait_dscnt 0x4
	v_lshrrev_b32_e32 v4, 16, v8
	s_wait_dscnt 0x3
	v_lshrrev_b32_e32 v25, 16, v26
	;; [unrolled: 2-line block ×4, first 2 shown]
	v_lshrrev_b32_e32 v27, 16, v12
	v_lshrrev_b32_e32 v23, 16, v10
.LBB0_17:
	s_wait_alu 0xfffe
	s_or_b32 exec_lo, exec_lo, s1
	v_lshrrev_b16 v29, 1, v3
	s_wait_dscnt 0x3
	v_lshrrev_b32_e32 v37, 16, v14
	s_wait_dscnt 0x2
	v_lshrrev_b32_e32 v38, 16, v17
	;; [unrolled: 2-line block ×4, first 2 shown]
	v_and_b32_e32 v29, 0x7f, v29
	v_lshrrev_b32_e32 v39, 16, v18
	v_lshrrev_b32_e32 v40, 16, v15
	v_lshrrev_b32_e32 v43, 16, v13
	s_delay_alu instid0(VALU_DEP_4) | instskip(NEXT) | instid1(VALU_DEP_1)
	v_mul_lo_u16 v29, 0xbb, v29
	v_lshrrev_b16 v35, 11, v29
	s_delay_alu instid0(VALU_DEP_1) | instskip(SKIP_1) | instid1(VALU_DEP_2)
	v_mul_lo_u16 v29, v35, 22
	v_and_b32_e32 v35, 0xffff, v35
	v_sub_nc_u16 v29, v3, v29
	s_delay_alu instid0(VALU_DEP_2) | instskip(NEXT) | instid1(VALU_DEP_2)
	v_mul_u32_u24_e32 v35, 0x268, v35
	v_and_b32_e32 v36, 0xff, v29
	s_delay_alu instid0(VALU_DEP_1) | instskip(SKIP_1) | instid1(VALU_DEP_2)
	v_mul_u32_u24_e32 v29, 6, v36
	v_lshlrev_b32_e32 v36, 2, v36
	v_lshlrev_b32_e32 v33, 2, v29
	s_delay_alu instid0(VALU_DEP_2)
	v_add3_u32 v35, 0, v35, v36
	s_clause 0x1
	global_load_b128 v[29:32], v33, s[8:9] offset:44
	global_load_b64 v[33:34], v33, s[8:9] offset:60
	global_wb scope:SCOPE_SE
	s_wait_loadcnt 0x0
	s_barrier_signal -1
	s_barrier_wait -1
	global_inv scope:SCOPE_SE
	v_lshrrev_b32_e32 v36, 16, v29
	v_lshrrev_b32_e32 v44, 16, v30
	v_lshrrev_b32_e32 v47, 16, v33
	v_lshrrev_b32_e32 v48, 16, v34
	v_lshrrev_b32_e32 v45, 16, v31
	v_lshrrev_b32_e32 v46, 16, v32
	v_mul_f16_e32 v49, v36, v37
	v_mul_f16_e32 v36, v36, v14
	;; [unrolled: 1-line block ×12, first 2 shown]
	v_fma_f16 v14, v29, v14, -v49
	v_fmac_f16_e32 v36, v29, v37
	v_fma_f16 v17, v30, v17, -v50
	v_fmac_f16_e32 v44, v30, v38
	;; [unrolled: 2-line block ×6, first 2 shown]
	v_add_f16_e32 v29, v14, v28
	v_add_f16_e32 v30, v36, v48
	;; [unrolled: 1-line block ×4, first 2 shown]
	v_sub_f16_e32 v14, v14, v28
	v_sub_f16_e32 v28, v36, v48
	;; [unrolled: 1-line block ×4, first 2 shown]
	v_add_f16_e32 v33, v18, v15
	v_add_f16_e32 v34, v45, v46
	v_sub_f16_e32 v15, v15, v18
	v_sub_f16_e32 v18, v46, v45
	v_add_f16_e32 v36, v31, v29
	v_add_f16_e32 v37, v32, v30
	v_sub_f16_e32 v38, v31, v29
	v_sub_f16_e32 v39, v32, v30
	;; [unrolled: 1-line block ×6, first 2 shown]
	v_add_f16_e32 v40, v15, v16
	v_add_f16_e32 v41, v18, v17
	v_sub_f16_e32 v42, v15, v16
	v_sub_f16_e32 v44, v18, v17
	;; [unrolled: 1-line block ×4, first 2 shown]
	v_add_f16_e32 v33, v33, v36
	v_add_f16_e32 v34, v34, v37
	v_sub_f16_e32 v15, v14, v15
	v_sub_f16_e32 v18, v28, v18
	v_add_f16_e32 v14, v40, v14
	v_add_f16_e32 v28, v41, v28
	v_mul_f16_e32 v29, 0x3a52, v29
	v_mul_f16_e32 v30, 0x3a52, v30
	;; [unrolled: 1-line block ×8, first 2 shown]
	v_add_f16_e32 v13, v33, v13
	v_add_f16_e32 v43, v34, v43
	v_fmamk_f16 v31, v31, 0x2b26, v29
	v_fmamk_f16 v32, v32, 0x2b26, v30
	v_fma_f16 v36, v38, 0x39e0, -v36
	v_fma_f16 v37, v39, 0x39e0, -v37
	v_fma_f16 v29, v38, 0xb9e0, -v29
	v_fma_f16 v30, v39, 0xb9e0, -v30
	v_fmamk_f16 v38, v15, 0x3574, v40
	v_fmamk_f16 v39, v18, 0x3574, v41
	v_fma_f16 v16, v16, 0x3b00, -v40
	v_fma_f16 v17, v17, 0x3b00, -v41
	v_fma_f16 v15, v15, 0xb574, -v42
	v_fma_f16 v18, v18, 0xb574, -v44
	v_fmamk_f16 v33, v33, 0xbcab, v13
	v_fmamk_f16 v34, v34, 0xbcab, v43
	v_fmac_f16_e32 v38, 0x370e, v14
	v_fmac_f16_e32 v39, 0x370e, v28
	;; [unrolled: 1-line block ×6, first 2 shown]
	v_add_f16_e32 v14, v31, v33
	v_add_f16_e32 v28, v32, v34
	;; [unrolled: 1-line block ×7, first 2 shown]
	v_sub_f16_e32 v34, v28, v38
	v_add_f16_e32 v36, v18, v29
	v_sub_f16_e32 v37, v30, v15
	v_sub_f16_e32 v40, v31, v17
	v_add_f16_e32 v41, v16, v32
	v_add_f16_e32 v17, v17, v31
	v_sub_f16_e32 v16, v32, v16
	v_sub_f16_e32 v18, v29, v18
	v_add_f16_e32 v15, v15, v30
	v_sub_f16_e32 v14, v14, v39
	v_add_f16_e32 v28, v38, v28
	v_pack_b32_f16 v13, v13, v43
	v_pack_b32_f16 v29, v33, v34
	;; [unrolled: 1-line block ×7, first 2 shown]
	ds_store_2addr_b32 v35, v13, v29 offset1:22
	ds_store_2addr_b32 v35, v30, v31 offset0:44 offset1:66
	ds_store_2addr_b32 v35, v16, v15 offset0:88 offset1:110
	ds_store_b32 v35, v14 offset:528
	s_and_saveexec_b32 s1, s0
	s_cbranch_execz .LBB0_19
; %bb.18:
	v_lshrrev_b32_e32 v13, 20, v21
	s_delay_alu instid0(VALU_DEP_1) | instskip(NEXT) | instid1(VALU_DEP_1)
	v_mul_lo_u16 v13, v13, 22
	v_sub_nc_u16 v13, v19, v13
	v_lshrrev_b16 v19, 1, v19
	s_delay_alu instid0(VALU_DEP_2) | instskip(NEXT) | instid1(VALU_DEP_2)
	v_and_b32_e32 v21, 0xffff, v13
	v_and_b32_e32 v19, 0x7f, v19
	s_delay_alu instid0(VALU_DEP_2) | instskip(NEXT) | instid1(VALU_DEP_2)
	v_mul_u32_u24_e32 v13, 6, v21
	v_mul_lo_u16 v19, 0xbb, v19
	v_lshlrev_b32_e32 v21, 2, v21
	s_delay_alu instid0(VALU_DEP_3) | instskip(NEXT) | instid1(VALU_DEP_3)
	v_lshlrev_b32_e32 v17, 2, v13
	v_lshrrev_b16 v19, 11, v19
	s_clause 0x1
	global_load_b128 v[13:16], v17, s[8:9] offset:44
	global_load_b64 v[17:18], v17, s[8:9] offset:60
	v_and_b32_e32 v19, 0xffff, v19
	s_delay_alu instid0(VALU_DEP_1) | instskip(NEXT) | instid1(VALU_DEP_1)
	v_mul_u32_u24_e32 v19, 0x268, v19
	v_add3_u32 v19, 0, v19, v21
	s_wait_loadcnt 0x1
	v_lshrrev_b32_e32 v21, 16, v13
	v_lshrrev_b32_e32 v28, 16, v14
	s_wait_loadcnt 0x0
	v_lshrrev_b32_e32 v29, 16, v18
	v_lshrrev_b32_e32 v32, 16, v17
	;; [unrolled: 1-line block ×4, first 2 shown]
	v_mul_f16_e32 v33, v23, v21
	v_mul_f16_e32 v34, v25, v29
	;; [unrolled: 1-line block ×12, first 2 shown]
	v_fma_f16 v10, v10, v13, -v33
	v_fma_f16 v26, v26, v18, -v34
	;; [unrolled: 1-line block ×4, first 2 shown]
	v_fmac_f16_e32 v29, v25, v18
	v_fmac_f16_e32 v21, v23, v13
	;; [unrolled: 1-line block ×4, first 2 shown]
	v_fma_f16 v11, v11, v16, -v35
	v_fma_f16 v8, v8, v15, -v36
	v_fmac_f16_e32 v31, v4, v15
	v_fmac_f16_e32 v30, v24, v16
	v_sub_f16_e32 v4, v10, v26
	v_sub_f16_e32 v14, v7, v12
	v_add_f16_e32 v15, v21, v29
	v_add_f16_e32 v17, v28, v32
	;; [unrolled: 1-line block ×4, first 2 shown]
	v_sub_f16_e32 v13, v11, v8
	v_add_f16_e32 v16, v31, v30
	v_add_f16_e32 v8, v8, v11
	v_sub_f16_e32 v11, v21, v29
	v_sub_f16_e32 v12, v30, v31
	;; [unrolled: 1-line block ×3, first 2 shown]
	v_add_f16_e32 v25, v17, v15
	v_add_f16_e32 v28, v7, v10
	v_sub_f16_e32 v21, v4, v13
	v_sub_f16_e32 v22, v13, v14
	v_add_f16_e32 v13, v13, v14
	v_sub_f16_e32 v23, v15, v16
	v_sub_f16_e32 v24, v16, v17
	;; [unrolled: 1-line block ×6, first 2 shown]
	v_add_f16_e32 v12, v12, v18
	v_sub_f16_e32 v14, v14, v4
	v_sub_f16_e32 v7, v7, v10
	;; [unrolled: 1-line block ×3, first 2 shown]
	v_add_f16_e32 v16, v16, v25
	v_add_f16_e32 v8, v8, v28
	v_sub_f16_e32 v15, v17, v15
	v_mul_f16_e32 v17, 0xb846, v22
	v_add_f16_e32 v4, v13, v4
	v_mul_f16_e32 v13, 0x3a52, v23
	v_mul_f16_e32 v22, 0x3a52, v26
	;; [unrolled: 1-line block ×3, first 2 shown]
	v_add_f16_e32 v11, v12, v11
	v_mul_f16_e32 v12, 0x3b00, v14
	v_mul_f16_e32 v26, 0x3b00, v10
	v_add_f16_e32 v20, v20, v16
	v_add_f16_e32 v9, v9, v8
	v_mul_f16_e32 v18, 0x2b26, v24
	v_mul_f16_e32 v23, 0x2b26, v27
	v_fmamk_f16 v28, v21, 0x3574, v17
	v_fmamk_f16 v24, v24, 0x2b26, v13
	;; [unrolled: 1-line block ×4, first 2 shown]
	v_fma_f16 v12, v21, 0xb574, -v12
	v_fma_f16 v21, v7, 0xb9e0, -v22
	;; [unrolled: 1-line block ×5, first 2 shown]
	v_fmamk_f16 v16, v16, 0xbcab, v20
	v_fmamk_f16 v8, v8, 0xbcab, v9
	v_fma_f16 v13, v15, 0xb9e0, -v13
	v_fma_f16 v15, v15, 0x39e0, -v18
	;; [unrolled: 1-line block ×3, first 2 shown]
	v_fmac_f16_e32 v28, 0x370e, v4
	v_fmac_f16_e32 v30, 0x370e, v11
	;; [unrolled: 1-line block ×6, first 2 shown]
	v_pack_b32_f16 v4, v9, v20
	v_add_f16_e32 v9, v24, v16
	v_add_f16_e32 v11, v27, v8
	;; [unrolled: 1-line block ×7, first 2 shown]
	v_sub_f16_e32 v16, v11, v30
	v_sub_f16_e32 v9, v9, v28
	v_add_f16_e32 v11, v30, v11
	v_add_f16_e32 v18, v12, v13
	v_sub_f16_e32 v20, v15, v14
	v_add_f16_e32 v14, v14, v15
	v_sub_f16_e32 v12, v13, v12
	;; [unrolled: 2-line block ×4, first 2 shown]
	v_pack_b32_f16 v9, v11, v9
	v_pack_b32_f16 v11, v13, v12
	;; [unrolled: 1-line block ×6, first 2 shown]
	ds_store_2addr_b32 v19, v4, v9 offset1:22
	ds_store_2addr_b32 v19, v11, v12 offset0:44 offset1:66
	ds_store_2addr_b32 v19, v7, v10 offset0:88 offset1:110
	ds_store_b32 v19, v8 offset:528
.LBB0_19:
	s_wait_alu 0xfffe
	s_or_b32 exec_lo, exec_lo, s1
	v_dual_mov_b32 v8, 0 :: v_dual_lshlrev_b32 v7, 2, v3
	global_wb scope:SCOPE_SE
	s_wait_dscnt 0x0
	s_barrier_signal -1
	s_barrier_wait -1
	global_inv scope:SCOPE_SE
	v_lshlrev_b64_e32 v[9:10], 2, v[7:8]
	v_add_nc_u32_e32 v26, 0x900, v0
	v_dual_mov_b32 v4, v8 :: v_dual_add_nc_u32 v27, 0xe00, v0
	v_add_nc_u32_e32 v28, 0x1200, v0
	v_add_nc_u32_e32 v29, 0x400, v0
	v_add_co_u32 v9, s0, s8, v9
	s_wait_alu 0xf1ff
	v_add_co_ci_u32_e64 v10, s0, s9, v10, s0
	ds_load_2addr_b32 v[16:17], v0 offset1:154
	global_load_b128 v[12:15], v[9:10], off offset:572
	ds_load_2addr_b32 v[18:19], v26 offset0:40 offset1:194
	ds_load_2addr_b32 v[20:21], v27 offset0:28 offset1:182
	;; [unrolled: 1-line block ×4, first 2 shown]
	v_lshlrev_b64_e32 v[8:9], 2, v[3:4]
	global_wb scope:SCOPE_SE
	s_wait_loadcnt_dscnt 0x0
	s_barrier_signal -1
	s_barrier_wait -1
	global_inv scope:SCOPE_SE
	v_add_co_u32 v10, s0, s8, v8
	s_wait_alu 0xf1ff
	v_add_co_ci_u32_e64 v11, s0, s9, v9, s0
	v_cmp_ne_u32_e64 s0, 0, v3
	v_lshrrev_b32_e32 v4, 16, v16
	v_lshrrev_b32_e32 v35, 16, v18
	;; [unrolled: 1-line block ×14, first 2 shown]
	s_delay_alu instid0(VALU_DEP_4) | instskip(NEXT) | instid1(VALU_DEP_4)
	v_mul_f16_e32 v43, v38, v34
	v_mul_f16_e32 v45, v40, v35
	;; [unrolled: 1-line block ×16, first 2 shown]
	v_fma_f16 v24, v12, v24, -v43
	v_fma_f16 v18, v13, v18, -v45
	v_fmac_f16_e32 v46, v13, v35
	v_fma_f16 v20, v14, v20, -v47
	v_fmac_f16_e32 v48, v14, v36
	;; [unrolled: 2-line block ×3, first 2 shown]
	v_fmac_f16_e32 v50, v15, v37
	v_fma_f16 v25, v12, v25, -v51
	v_fmac_f16_e32 v38, v12, v39
	v_fma_f16 v12, v19, v13, -v52
	;; [unrolled: 2-line block ×4, first 2 shown]
	v_fmac_f16_e32 v42, v33, v15
	v_add_f16_e32 v15, v16, v24
	v_add_f16_e32 v19, v18, v20
	;; [unrolled: 1-line block ×4, first 2 shown]
	v_sub_f16_e32 v31, v24, v18
	v_sub_f16_e32 v32, v22, v20
	v_add_f16_e32 v36, v4, v44
	v_add_f16_e32 v47, v44, v50
	v_sub_f16_e32 v21, v44, v50
	v_sub_f16_e32 v34, v18, v24
	;; [unrolled: 1-line block ×6, first 2 shown]
	v_add_f16_e32 v51, v17, v25
	v_add_f16_e32 v52, v12, v13
	;; [unrolled: 1-line block ×6, first 2 shown]
	v_sub_f16_e32 v24, v24, v22
	v_sub_f16_e32 v39, v18, v20
	v_add_f16_e32 v15, v15, v18
	v_fma_f16 v18, -0.5, v19, v16
	v_fma_f16 v16, -0.5, v33, v16
	;; [unrolled: 1-line block ×3, first 2 shown]
	v_sub_f16_e32 v23, v46, v48
	v_add_f16_e32 v19, v31, v32
	v_add_f16_e32 v32, v36, v46
	v_fmac_f16_e32 v4, -0.5, v47
	v_sub_f16_e32 v53, v38, v42
	v_sub_f16_e32 v54, v40, v41
	;; [unrolled: 1-line block ×8, first 2 shown]
	v_add_f16_e32 v31, v34, v35
	v_add_f16_e32 v35, v44, v49
	;; [unrolled: 1-line block ×3, first 2 shown]
	v_fma_f16 v36, -0.5, v52, v17
	v_fmac_f16_e32 v17, -0.5, v57
	v_add_f16_e32 v40, v60, v40
	v_fma_f16 v44, -0.5, v61, v30
	v_fmac_f16_e32 v30, -0.5, v65
	v_sub_f16_e32 v45, v50, v48
	v_add_f16_e32 v15, v15, v20
	v_fmamk_f16 v20, v21, 0x3b9c, v18
	v_fmamk_f16 v47, v24, 0xbb9c, v33
	;; [unrolled: 1-line block ×3, first 2 shown]
	v_fmac_f16_e32 v16, 0x3b9c, v23
	v_add_f16_e32 v32, v32, v48
	v_fmamk_f16 v48, v39, 0x3b9c, v4
	v_fmac_f16_e32 v4, 0xbb9c, v39
	v_fmac_f16_e32 v18, 0xbb9c, v21
	;; [unrolled: 1-line block ×3, first 2 shown]
	v_sub_f16_e32 v56, v14, v13
	v_sub_f16_e32 v59, v13, v14
	;; [unrolled: 1-line block ×4, first 2 shown]
	v_add_f16_e32 v12, v12, v13
	v_fmamk_f16 v13, v53, 0x3b9c, v36
	v_fmamk_f16 v49, v54, 0xbb9c, v17
	v_add_f16_e32 v40, v40, v41
	v_fmamk_f16 v41, v25, 0xbb9c, v44
	v_fmamk_f16 v51, v62, 0x3b9c, v30
	v_fmac_f16_e32 v36, 0xbb9c, v53
	v_fmac_f16_e32 v17, 0x3b9c, v54
	;; [unrolled: 1-line block ×4, first 2 shown]
	v_add_f16_e32 v34, v43, v45
	v_fmac_f16_e32 v20, 0x38b4, v23
	v_fmac_f16_e32 v47, 0xb8b4, v39
	;; [unrolled: 1-line block ×8, first 2 shown]
	v_add_f16_e32 v37, v55, v56
	v_add_f16_e32 v43, v58, v59
	;; [unrolled: 1-line block ×4, first 2 shown]
	v_fmac_f16_e32 v13, 0x38b4, v54
	v_fmac_f16_e32 v49, 0x38b4, v53
	;; [unrolled: 1-line block ×8, first 2 shown]
	v_add_f16_e32 v15, v15, v22
	v_add_f16_e32 v21, v32, v50
	;; [unrolled: 1-line block ×4, first 2 shown]
	v_fmac_f16_e32 v20, 0x34f2, v19
	v_fmac_f16_e32 v47, 0x34f2, v34
	;; [unrolled: 1-line block ×16, first 2 shown]
	v_pack_b32_f16 v15, v15, v21
	v_pack_b32_f16 v12, v12, v14
	;; [unrolled: 1-line block ×10, first 2 shown]
	ds_store_2addr_b32 v0, v15, v14 offset1:154
	ds_store_2addr_b32 v29, v19, v4 offset0:52 offset1:206
	ds_store_2addr_b32 v26, v16, v12 offset0:40 offset1:194
	;; [unrolled: 1-line block ×4, first 2 shown]
	global_wb scope:SCOPE_SE
	s_wait_dscnt 0x0
	s_barrier_signal -1
	s_barrier_wait -1
	global_inv scope:SCOPE_SE
	s_clause 0x4
	global_load_b32 v4, v[10:11], off offset:3036
	global_load_b32 v22, v[10:11], off offset:3652
	;; [unrolled: 1-line block ×5, first 2 shown]
	ds_load_2addr_b32 v[12:13], v26 offset0:40 offset1:194
	ds_load_2addr_b32 v[14:15], v27 offset0:28 offset1:182
	;; [unrolled: 1-line block ×3, first 2 shown]
	ds_load_2addr_b32 v[18:19], v0 offset1:154
	ds_load_2addr_b32 v[20:21], v29 offset0:52 offset1:206
	global_wb scope:SCOPE_SE
	s_wait_loadcnt_dscnt 0x0
	s_barrier_signal -1
	s_barrier_wait -1
	global_inv scope:SCOPE_SE
	v_pk_mul_f16 v30, v4, v13 op_sel:[0,1]
	v_pk_mul_f16 v31, v22, v14 op_sel:[0,1]
	v_pk_mul_f16 v32, v23, v15 op_sel:[0,1]
	v_pk_mul_f16 v33, v24, v16 op_sel:[0,1]
	v_pk_mul_f16 v34, v25, v17 op_sel:[0,1]
	v_pk_fma_f16 v35, v4, v13, v30 op_sel:[0,0,1] op_sel_hi:[1,1,0] neg_lo:[0,0,1] neg_hi:[0,0,1]
	v_pk_fma_f16 v4, v4, v13, v30 op_sel:[0,0,1] op_sel_hi:[1,0,0]
	v_pk_fma_f16 v13, v22, v14, v31 op_sel:[0,0,1] op_sel_hi:[1,1,0] neg_lo:[0,0,1] neg_hi:[0,0,1]
	v_pk_fma_f16 v14, v22, v14, v31 op_sel:[0,0,1] op_sel_hi:[1,0,0]
	;; [unrolled: 2-line block ×5, first 2 shown]
	v_bfi_b32 v4, 0xffff, v35, v4
	v_bfi_b32 v13, 0xffff, v13, v14
	;; [unrolled: 1-line block ×5, first 2 shown]
	v_pk_add_f16 v4, v18, v4 neg_lo:[0,1] neg_hi:[0,1]
	v_pk_add_f16 v13, v19, v13 neg_lo:[0,1] neg_hi:[0,1]
	;; [unrolled: 1-line block ×5, first 2 shown]
	v_pk_fma_f16 v17, v18, 2.0, v4 op_sel_hi:[1,0,1] neg_lo:[0,0,1] neg_hi:[0,0,1]
	v_pk_fma_f16 v18, v19, 2.0, v13 op_sel_hi:[1,0,1] neg_lo:[0,0,1] neg_hi:[0,0,1]
	v_pk_fma_f16 v19, v20, 2.0, v14 op_sel_hi:[1,0,1] neg_lo:[0,0,1] neg_hi:[0,0,1]
	v_pk_fma_f16 v20, v21, 2.0, v15 op_sel_hi:[1,0,1] neg_lo:[0,0,1] neg_hi:[0,0,1]
	v_pk_fma_f16 v12, v12, 2.0, v16 op_sel_hi:[1,0,1] neg_lo:[0,0,1] neg_hi:[0,0,1]
	ds_store_2addr_b32 v27, v13, v14 offset0:28 offset1:182
	ds_store_2addr_b32 v28, v15, v16 offset0:80 offset1:234
	ds_store_2addr_b32 v0, v17, v18 offset1:154
	ds_store_2addr_b32 v29, v19, v20 offset0:52 offset1:206
	ds_store_2addr_b32 v26, v12, v4 offset0:40 offset1:194
	global_wb scope:SCOPE_SE
	s_wait_dscnt 0x0
	s_barrier_signal -1
	s_barrier_wait -1
	global_inv scope:SCOPE_SE
	ds_load_b32 v14, v0
	v_sub_nc_u32_e32 v4, 0, v7
                                        ; implicit-def: $vgpr13
                                        ; implicit-def: $vgpr12
                                        ; implicit-def: $vgpr7
	s_and_saveexec_b32 s1, s0
	s_wait_alu 0xfffe
	s_xor_b32 s0, exec_lo, s1
	s_cbranch_execz .LBB0_21
; %bb.20:
	global_load_b32 v7, v[10:11], off offset:6116
	ds_load_b32 v10, v4 offset:6160
	s_wait_dscnt 0x0
	v_pk_add_f16 v11, v14, v10 neg_lo:[0,1] neg_hi:[0,1]
	v_pk_add_f16 v10, v10, v14
	s_delay_alu instid0(VALU_DEP_1) | instskip(SKIP_1) | instid1(VALU_DEP_2)
	v_bfi_b32 v12, 0xffff, v11, v10
	v_bfi_b32 v10, 0xffff, v10, v11
	v_pk_mul_f16 v12, v12, 0.5 op_sel_hi:[1,0]
	s_delay_alu instid0(VALU_DEP_2) | instskip(SKIP_1) | instid1(VALU_DEP_2)
	v_pk_mul_f16 v13, v10, 0.5 op_sel_hi:[1,0]
	s_wait_loadcnt 0x0
	v_pk_mul_f16 v11, v7, v12 op_sel:[1,0]
	v_pk_mul_f16 v7, v7, v12 op_sel_hi:[0,1]
	s_delay_alu instid0(VALU_DEP_3) | instskip(NEXT) | instid1(VALU_DEP_3)
	v_lshrrev_b32_e32 v12, 16, v13
	v_pk_fma_f16 v10, v10, 0.5, v11 op_sel_hi:[1,0,1]
	v_lshrrev_b32_e32 v14, 16, v11
	v_sub_f16_e32 v11, v13, v11
	v_lshrrev_b32_e32 v13, 16, v7
	s_delay_alu instid0(VALU_DEP_4) | instskip(SKIP_2) | instid1(VALU_DEP_4)
	v_pk_add_f16 v15, v10, v7 op_sel:[0,1] op_sel_hi:[1,0]
	v_pk_add_f16 v10, v10, v7 op_sel:[0,1] op_sel_hi:[1,0] neg_lo:[0,1] neg_hi:[0,1]
	v_sub_f16_e32 v14, v14, v12
	v_sub_f16_e32 v12, v11, v13
	s_delay_alu instid0(VALU_DEP_3) | instskip(NEXT) | instid1(VALU_DEP_3)
	v_bfi_b32 v13, 0xffff, v15, v10
	v_sub_f16_e32 v7, v14, v7
                                        ; implicit-def: $vgpr14
.LBB0_21:
	s_wait_alu 0xfffe
	s_and_not1_saveexec_b32 s0, s0
	s_cbranch_execz .LBB0_23
; %bb.22:
	v_mov_b32_e32 v7, 0
	s_wait_dscnt 0x0
	s_wait_alu 0xfffe
	v_alignbit_b32 v11, s0, v14, 16
	v_lshrrev_b32_e32 v12, 16, v14
	ds_load_u16 v10, v7 offset:3082
	v_pk_add_f16 v11, v11, v14
	v_sub_f16_e32 v12, v14, v12
	s_delay_alu instid0(VALU_DEP_2)
	v_pack_b32_f16 v13, v11, 0
	s_wait_dscnt 0x0
	v_xor_b32_e32 v10, 0x8000, v10
	ds_store_b16 v7, v10 offset:3082
.LBB0_23:
	s_wait_alu 0xfffe
	s_or_b32 exec_lo, exec_lo, s0
	s_add_nc_u64 s[0:1], s[8:9], 0x17e4
	s_wait_alu 0xfffe
	v_add_co_u32 v8, s0, s0, v8
	s_wait_alu 0xf1ff
	v_add_co_ci_u32_e64 v9, s0, s1, v9, s0
	s_clause 0x1
	global_load_b32 v10, v[8:9], off offset:616
	global_load_b32 v11, v[8:9], off offset:1232
	s_wait_dscnt 0x0
	s_clause 0x1
	global_load_b32 v14, v[8:9], off offset:1848
	global_load_b32 v8, v[8:9], off offset:2464
	ds_store_b16 v4, v7 offset:6162
	ds_store_b32 v0, v13
	ds_store_b16 v4, v12 offset:6160
	ds_load_b32 v7, v0 offset:616
	ds_load_b32 v9, v4 offset:5544
	s_wait_dscnt 0x0
	v_pk_add_f16 v12, v7, v9 neg_lo:[0,1] neg_hi:[0,1]
	v_pk_add_f16 v7, v7, v9
	s_delay_alu instid0(VALU_DEP_1) | instskip(SKIP_1) | instid1(VALU_DEP_2)
	v_bfi_b32 v9, 0xffff, v12, v7
	v_bfi_b32 v7, 0xffff, v7, v12
	v_pk_mul_f16 v9, v9, 0.5 op_sel_hi:[1,0]
	s_delay_alu instid0(VALU_DEP_2) | instskip(NEXT) | instid1(VALU_DEP_1)
	v_pk_mul_f16 v12, v7, 0.5 op_sel_hi:[1,0]
	v_lshrrev_b32_e32 v15, 16, v12
	s_wait_loadcnt 0x3
	s_delay_alu instid0(VALU_DEP_3) | instskip(SKIP_1) | instid1(VALU_DEP_2)
	v_pk_mul_f16 v13, v10, v9 op_sel:[1,0]
	v_pk_mul_f16 v9, v10, v9 op_sel_hi:[0,1]
	v_lshrrev_b32_e32 v10, 16, v13
	v_pk_fma_f16 v7, v7, 0.5, v13 op_sel_hi:[1,0,1]
	v_sub_f16_e32 v12, v12, v13
	s_delay_alu instid0(VALU_DEP_3) | instskip(NEXT) | instid1(VALU_DEP_3)
	v_sub_f16_e32 v10, v10, v15
	v_pk_add_f16 v13, v7, v9 op_sel:[0,1] op_sel_hi:[1,0]
	v_pk_add_f16 v7, v7, v9 op_sel:[0,1] op_sel_hi:[1,0] neg_lo:[0,1] neg_hi:[0,1]
	v_lshrrev_b32_e32 v15, 16, v9
	s_delay_alu instid0(VALU_DEP_4) | instskip(NEXT) | instid1(VALU_DEP_3)
	v_sub_f16_e32 v9, v10, v9
	v_bfi_b32 v7, 0xffff, v13, v7
	s_delay_alu instid0(VALU_DEP_3)
	v_sub_f16_e32 v10, v12, v15
	ds_store_b16 v4, v9 offset:5546
	ds_store_b32 v0, v7 offset:616
	ds_store_b16 v4, v10 offset:5544
	ds_load_b32 v7, v0 offset:1232
	ds_load_b32 v9, v4 offset:4928
	s_wait_dscnt 0x0
	v_pk_add_f16 v10, v7, v9 neg_lo:[0,1] neg_hi:[0,1]
	v_pk_add_f16 v7, v7, v9
	s_delay_alu instid0(VALU_DEP_1) | instskip(SKIP_1) | instid1(VALU_DEP_2)
	v_bfi_b32 v9, 0xffff, v10, v7
	v_bfi_b32 v7, 0xffff, v7, v10
	v_pk_mul_f16 v9, v9, 0.5 op_sel_hi:[1,0]
	s_delay_alu instid0(VALU_DEP_2) | instskip(SKIP_1) | instid1(VALU_DEP_2)
	v_pk_mul_f16 v7, v7, 0.5 op_sel_hi:[1,0]
	s_wait_loadcnt 0x2
	v_pk_mul_f16 v12, v11, v9 op_sel_hi:[0,1]
	s_delay_alu instid0(VALU_DEP_2) | instskip(SKIP_2) | instid1(VALU_DEP_3)
	v_pk_fma_f16 v10, v11, v9, v7 op_sel:[1,0,0]
	v_pk_fma_f16 v13, v11, v9, v7 op_sel:[1,0,0] neg_lo:[1,0,0] neg_hi:[1,0,0]
	v_pk_fma_f16 v7, v11, v9, v7 op_sel:[1,0,0] neg_lo:[0,0,1] neg_hi:[0,0,1]
	v_pk_add_f16 v9, v10, v12 op_sel:[0,1] op_sel_hi:[1,0]
	v_pk_add_f16 v10, v10, v12 op_sel:[0,1] op_sel_hi:[1,0] neg_lo:[0,1] neg_hi:[0,1]
	s_delay_alu instid0(VALU_DEP_4) | instskip(NEXT) | instid1(VALU_DEP_4)
	v_pk_add_f16 v11, v13, v12 op_sel:[0,1] op_sel_hi:[1,0] neg_lo:[0,1] neg_hi:[0,1]
	v_pk_add_f16 v7, v7, v12 op_sel:[0,1] op_sel_hi:[1,0] neg_lo:[0,1] neg_hi:[0,1]
	s_delay_alu instid0(VALU_DEP_3) | instskip(NEXT) | instid1(VALU_DEP_2)
	v_bfi_b32 v9, 0xffff, v9, v10
	v_bfi_b32 v7, 0xffff, v11, v7
	ds_store_b32 v0, v9 offset:1232
	ds_store_b32 v4, v7 offset:4928
	ds_load_b32 v7, v0 offset:1848
	ds_load_b32 v9, v4 offset:4312
	s_wait_dscnt 0x0
	v_pk_add_f16 v10, v7, v9 neg_lo:[0,1] neg_hi:[0,1]
	v_pk_add_f16 v7, v7, v9
	s_delay_alu instid0(VALU_DEP_1) | instskip(SKIP_1) | instid1(VALU_DEP_2)
	v_bfi_b32 v9, 0xffff, v10, v7
	v_bfi_b32 v7, 0xffff, v7, v10
	v_pk_mul_f16 v9, v9, 0.5 op_sel_hi:[1,0]
	s_delay_alu instid0(VALU_DEP_2) | instskip(SKIP_1) | instid1(VALU_DEP_2)
	v_pk_mul_f16 v7, v7, 0.5 op_sel_hi:[1,0]
	s_wait_loadcnt 0x1
	v_pk_mul_f16 v11, v14, v9 op_sel_hi:[0,1]
	s_delay_alu instid0(VALU_DEP_2) | instskip(SKIP_2) | instid1(VALU_DEP_3)
	v_pk_fma_f16 v10, v14, v9, v7 op_sel:[1,0,0]
	v_pk_fma_f16 v12, v14, v9, v7 op_sel:[1,0,0] neg_lo:[1,0,0] neg_hi:[1,0,0]
	v_pk_fma_f16 v7, v14, v9, v7 op_sel:[1,0,0] neg_lo:[0,0,1] neg_hi:[0,0,1]
	v_pk_add_f16 v9, v10, v11 op_sel:[0,1] op_sel_hi:[1,0]
	v_pk_add_f16 v10, v10, v11 op_sel:[0,1] op_sel_hi:[1,0] neg_lo:[0,1] neg_hi:[0,1]
	s_delay_alu instid0(VALU_DEP_4) | instskip(NEXT) | instid1(VALU_DEP_4)
	v_pk_add_f16 v12, v12, v11 op_sel:[0,1] op_sel_hi:[1,0] neg_lo:[0,1] neg_hi:[0,1]
	v_pk_add_f16 v7, v7, v11 op_sel:[0,1] op_sel_hi:[1,0] neg_lo:[0,1] neg_hi:[0,1]
	s_delay_alu instid0(VALU_DEP_3) | instskip(NEXT) | instid1(VALU_DEP_2)
	v_bfi_b32 v9, 0xffff, v9, v10
	v_bfi_b32 v7, 0xffff, v12, v7
	ds_store_b32 v0, v9 offset:1848
	ds_store_b32 v4, v7 offset:4312
	;; [unrolled: 27-line block ×3, first 2 shown]
	global_wb scope:SCOPE_SE
	s_wait_dscnt 0x0
	s_barrier_signal -1
	s_barrier_wait -1
	global_inv scope:SCOPE_SE
	s_and_saveexec_b32 s0, vcc_lo
	s_cbranch_execz .LBB0_26
; %bb.24:
	v_mul_lo_u32 v0, s3, v5
	v_mul_lo_u32 v7, s2, v6
	v_mad_co_u64_u32 v[5:6], null, s2, v5, 0
	v_mov_b32_e32 v4, 0
	v_lshl_add_u32 v31, v3, 2, 0
	ds_load_2addr_b32 v[11:12], v31 offset1:154
	v_add3_u32 v6, v6, v7, v0
	v_add_nc_u32_e32 v7, 0x9a, v3
	v_lshlrev_b64_e32 v[0:1], 2, v[1:2]
	v_lshlrev_b64_e32 v[13:14], 2, v[3:4]
	v_dual_mov_b32 v8, v4 :: v_dual_add_nc_u32 v9, 0x134, v3
	v_lshlrev_b64_e32 v[5:6], 2, v[5:6]
	v_dual_mov_b32 v10, v4 :: v_dual_add_nc_u32 v15, 0x400, v31
	v_dual_mov_b32 v18, v4 :: v_dual_add_nc_u32 v17, 0x268, v3
	;; [unrolled: 1-line block ×3, first 2 shown]
	s_delay_alu instid0(VALU_DEP_4) | instskip(SKIP_3) | instid1(VALU_DEP_3)
	v_add_co_u32 v2, vcc_lo, s6, v5
	s_wait_alu 0xfffd
	v_add_co_ci_u32_e32 v5, vcc_lo, s7, v6, vcc_lo
	v_lshlrev_b64_e32 v[9:10], 2, v[9:10]
	v_add_co_u32 v0, vcc_lo, v2, v0
	s_wait_alu 0xfffd
	s_delay_alu instid0(VALU_DEP_3) | instskip(SKIP_1) | instid1(VALU_DEP_3)
	v_add_co_ci_u32_e32 v1, vcc_lo, v5, v1, vcc_lo
	v_lshlrev_b64_e32 v[5:6], 2, v[7:8]
	v_add_co_u32 v7, vcc_lo, v0, v13
	s_wait_alu 0xfffd
	s_delay_alu instid0(VALU_DEP_3)
	v_add_co_ci_u32_e32 v8, vcc_lo, v1, v14, vcc_lo
	ds_load_2addr_b32 v[13:14], v15 offset0:52 offset1:206
	v_dual_mov_b32 v16, v4 :: v_dual_add_nc_u32 v15, 0x1ce, v3
	v_add_co_u32 v5, vcc_lo, v0, v5
	s_wait_alu 0xfffd
	v_add_co_ci_u32_e32 v6, vcc_lo, v1, v6, vcc_lo
	s_delay_alu instid0(VALU_DEP_3)
	v_lshlrev_b64_e32 v[15:16], 2, v[15:16]
	v_add_co_u32 v9, vcc_lo, v0, v9
	v_lshlrev_b64_e32 v[17:18], 2, v[17:18]
	v_dual_mov_b32 v24, v4 :: v_dual_add_nc_u32 v23, 0x39c, v3
	s_wait_alu 0xfffd
	v_add_co_ci_u32_e32 v10, vcc_lo, v1, v10, vcc_lo
	v_add_nc_u32_e32 v2, 0x900, v31
	v_add_co_u32 v15, vcc_lo, v0, v15
	v_lshlrev_b64_e32 v[19:20], 2, v[19:20]
	v_dual_mov_b32 v28, v4 :: v_dual_add_nc_u32 v27, 0x436, v3
	s_wait_alu 0xfffd
	v_add_co_ci_u32_e32 v16, vcc_lo, v1, v16, vcc_lo
	v_add_co_u32 v17, vcc_lo, v0, v17
	v_lshlrev_b64_e32 v[23:24], 2, v[23:24]
	ds_load_2addr_b32 v[21:22], v2 offset0:40 offset1:194
	v_add_nc_u32_e32 v2, 0xe00, v31
	v_dual_mov_b32 v30, v4 :: v_dual_add_nc_u32 v29, 0x4d0, v3
	s_wait_alu 0xfffd
	v_add_co_ci_u32_e32 v18, vcc_lo, v1, v18, vcc_lo
	v_add_co_u32 v19, vcc_lo, v0, v19
	v_lshlrev_b64_e32 v[27:28], 2, v[27:28]
	v_dual_mov_b32 v34, v4 :: v_dual_add_nc_u32 v33, 0x56a, v3
	s_wait_alu 0xfffd
	v_add_co_ci_u32_e32 v20, vcc_lo, v1, v20, vcc_lo
	ds_load_2addr_b32 v[25:26], v2 offset0:28 offset1:182
	v_add_nc_u32_e32 v2, 0x1200, v31
	v_add_co_u32 v23, vcc_lo, v0, v23
	v_lshlrev_b64_e32 v[29:30], 2, v[29:30]
	s_wait_alu 0xfffd
	v_add_co_ci_u32_e32 v24, vcc_lo, v1, v24, vcc_lo
	v_add_co_u32 v27, vcc_lo, v0, v27
	v_lshlrev_b64_e32 v[33:34], 2, v[33:34]
	ds_load_2addr_b32 v[31:32], v2 offset0:80 offset1:234
	s_wait_alu 0xfffd
	v_add_co_ci_u32_e32 v28, vcc_lo, v1, v28, vcc_lo
	v_add_co_u32 v29, vcc_lo, v0, v29
	s_wait_alu 0xfffd
	v_add_co_ci_u32_e32 v30, vcc_lo, v1, v30, vcc_lo
	v_add_co_u32 v33, vcc_lo, v0, v33
	s_wait_alu 0xfffd
	v_add_co_ci_u32_e32 v34, vcc_lo, v1, v34, vcc_lo
	v_cmp_eq_u32_e32 vcc_lo, 0x99, v3
	s_wait_dscnt 0x4
	s_clause 0x1
	global_store_b32 v[7:8], v11, off
	global_store_b32 v[5:6], v12, off
	s_wait_dscnt 0x3
	s_clause 0x1
	global_store_b32 v[9:10], v13, off
	global_store_b32 v[15:16], v14, off
	;; [unrolled: 4-line block ×5, first 2 shown]
	s_and_b32 exec_lo, exec_lo, vcc_lo
	s_cbranch_execz .LBB0_26
; %bb.25:
	ds_load_b32 v2, v4 offset:6160
	s_wait_dscnt 0x0
	global_store_b32 v[0:1], v2, off offset:6160
.LBB0_26:
	s_nop 0
	s_sendmsg sendmsg(MSG_DEALLOC_VGPRS)
	s_endpgm
	.section	.rodata,"a",@progbits
	.p2align	6, 0x0
	.amdhsa_kernel fft_rtc_fwd_len1540_factors_11_2_7_5_2_wgs_154_tpt_154_halfLds_half_op_CI_CI_unitstride_sbrr_R2C_dirReg
		.amdhsa_group_segment_fixed_size 0
		.amdhsa_private_segment_fixed_size 0
		.amdhsa_kernarg_size 104
		.amdhsa_user_sgpr_count 2
		.amdhsa_user_sgpr_dispatch_ptr 0
		.amdhsa_user_sgpr_queue_ptr 0
		.amdhsa_user_sgpr_kernarg_segment_ptr 1
		.amdhsa_user_sgpr_dispatch_id 0
		.amdhsa_user_sgpr_private_segment_size 0
		.amdhsa_wavefront_size32 1
		.amdhsa_uses_dynamic_stack 0
		.amdhsa_enable_private_segment 0
		.amdhsa_system_sgpr_workgroup_id_x 1
		.amdhsa_system_sgpr_workgroup_id_y 0
		.amdhsa_system_sgpr_workgroup_id_z 0
		.amdhsa_system_sgpr_workgroup_info 0
		.amdhsa_system_vgpr_workitem_id 0
		.amdhsa_next_free_vgpr 92
		.amdhsa_next_free_sgpr 39
		.amdhsa_reserve_vcc 1
		.amdhsa_float_round_mode_32 0
		.amdhsa_float_round_mode_16_64 0
		.amdhsa_float_denorm_mode_32 3
		.amdhsa_float_denorm_mode_16_64 3
		.amdhsa_fp16_overflow 0
		.amdhsa_workgroup_processor_mode 1
		.amdhsa_memory_ordered 1
		.amdhsa_forward_progress 0
		.amdhsa_round_robin_scheduling 0
		.amdhsa_exception_fp_ieee_invalid_op 0
		.amdhsa_exception_fp_denorm_src 0
		.amdhsa_exception_fp_ieee_div_zero 0
		.amdhsa_exception_fp_ieee_overflow 0
		.amdhsa_exception_fp_ieee_underflow 0
		.amdhsa_exception_fp_ieee_inexact 0
		.amdhsa_exception_int_div_zero 0
	.end_amdhsa_kernel
	.text
.Lfunc_end0:
	.size	fft_rtc_fwd_len1540_factors_11_2_7_5_2_wgs_154_tpt_154_halfLds_half_op_CI_CI_unitstride_sbrr_R2C_dirReg, .Lfunc_end0-fft_rtc_fwd_len1540_factors_11_2_7_5_2_wgs_154_tpt_154_halfLds_half_op_CI_CI_unitstride_sbrr_R2C_dirReg
                                        ; -- End function
	.section	.AMDGPU.csdata,"",@progbits
; Kernel info:
; codeLenInByte = 10720
; NumSgprs: 41
; NumVgprs: 92
; ScratchSize: 0
; MemoryBound: 0
; FloatMode: 240
; IeeeMode: 1
; LDSByteSize: 0 bytes/workgroup (compile time only)
; SGPRBlocks: 5
; VGPRBlocks: 11
; NumSGPRsForWavesPerEU: 41
; NumVGPRsForWavesPerEU: 92
; Occupancy: 15
; WaveLimiterHint : 1
; COMPUTE_PGM_RSRC2:SCRATCH_EN: 0
; COMPUTE_PGM_RSRC2:USER_SGPR: 2
; COMPUTE_PGM_RSRC2:TRAP_HANDLER: 0
; COMPUTE_PGM_RSRC2:TGID_X_EN: 1
; COMPUTE_PGM_RSRC2:TGID_Y_EN: 0
; COMPUTE_PGM_RSRC2:TGID_Z_EN: 0
; COMPUTE_PGM_RSRC2:TIDIG_COMP_CNT: 0
	.text
	.p2alignl 7, 3214868480
	.fill 96, 4, 3214868480
	.type	__hip_cuid_2f30fabfb1b08eef,@object ; @__hip_cuid_2f30fabfb1b08eef
	.section	.bss,"aw",@nobits
	.globl	__hip_cuid_2f30fabfb1b08eef
__hip_cuid_2f30fabfb1b08eef:
	.byte	0                               ; 0x0
	.size	__hip_cuid_2f30fabfb1b08eef, 1

	.ident	"AMD clang version 19.0.0git (https://github.com/RadeonOpenCompute/llvm-project roc-6.4.0 25133 c7fe45cf4b819c5991fe208aaa96edf142730f1d)"
	.section	".note.GNU-stack","",@progbits
	.addrsig
	.addrsig_sym __hip_cuid_2f30fabfb1b08eef
	.amdgpu_metadata
---
amdhsa.kernels:
  - .args:
      - .actual_access:  read_only
        .address_space:  global
        .offset:         0
        .size:           8
        .value_kind:     global_buffer
      - .offset:         8
        .size:           8
        .value_kind:     by_value
      - .actual_access:  read_only
        .address_space:  global
        .offset:         16
        .size:           8
        .value_kind:     global_buffer
      - .actual_access:  read_only
        .address_space:  global
        .offset:         24
        .size:           8
        .value_kind:     global_buffer
      - .actual_access:  read_only
        .address_space:  global
        .offset:         32
        .size:           8
        .value_kind:     global_buffer
      - .offset:         40
        .size:           8
        .value_kind:     by_value
      - .actual_access:  read_only
        .address_space:  global
        .offset:         48
        .size:           8
        .value_kind:     global_buffer
      - .actual_access:  read_only
        .address_space:  global
        .offset:         56
        .size:           8
        .value_kind:     global_buffer
      - .offset:         64
        .size:           4
        .value_kind:     by_value
      - .actual_access:  read_only
        .address_space:  global
        .offset:         72
        .size:           8
        .value_kind:     global_buffer
      - .actual_access:  read_only
        .address_space:  global
        .offset:         80
        .size:           8
        .value_kind:     global_buffer
      - .actual_access:  read_only
        .address_space:  global
        .offset:         88
        .size:           8
        .value_kind:     global_buffer
      - .actual_access:  write_only
        .address_space:  global
        .offset:         96
        .size:           8
        .value_kind:     global_buffer
    .group_segment_fixed_size: 0
    .kernarg_segment_align: 8
    .kernarg_segment_size: 104
    .language:       OpenCL C
    .language_version:
      - 2
      - 0
    .max_flat_workgroup_size: 154
    .name:           fft_rtc_fwd_len1540_factors_11_2_7_5_2_wgs_154_tpt_154_halfLds_half_op_CI_CI_unitstride_sbrr_R2C_dirReg
    .private_segment_fixed_size: 0
    .sgpr_count:     41
    .sgpr_spill_count: 0
    .symbol:         fft_rtc_fwd_len1540_factors_11_2_7_5_2_wgs_154_tpt_154_halfLds_half_op_CI_CI_unitstride_sbrr_R2C_dirReg.kd
    .uniform_work_group_size: 1
    .uses_dynamic_stack: false
    .vgpr_count:     92
    .vgpr_spill_count: 0
    .wavefront_size: 32
    .workgroup_processor_mode: 1
amdhsa.target:   amdgcn-amd-amdhsa--gfx1201
amdhsa.version:
  - 1
  - 2
...

	.end_amdgpu_metadata
